;; amdgpu-corpus repo=zjin-lcf/HeCBench kind=compiled arch=gfx906 opt=O3
	.amdgcn_target "amdgcn-amd-amdhsa--gfx906"
	.amdhsa_code_object_version 6
	.text
	.protected	_Z13k_cube_selectiiiPKiPi ; -- Begin function _Z13k_cube_selectiiiPKiPi
	.globl	_Z13k_cube_selectiiiPKiPi
	.p2align	8
	.type	_Z13k_cube_selectiiiPKiPi,@function
_Z13k_cube_selectiiiPKiPi:              ; @_Z13k_cube_selectiiiPKiPi
; %bb.0:
	s_load_dwordx2 s[8:9], s[4:5], 0x4
	s_waitcnt lgkmcnt(0)
	v_cmp_gt_i32_e32 vcc, s8, v0
	s_and_saveexec_b64 s[0:1], vcc
	s_cbranch_execz .LBB0_11
; %bb.1:
	s_load_dwordx4 s[0:3], s[4:5], 0x10
	s_mul_i32 s10, s8, s6
	s_mul_i32 s6, s10, 3
	s_ashr_i32 s7, s6, 31
	s_lshl_b64 s[6:7], s[6:7], 2
	s_waitcnt lgkmcnt(0)
	s_add_u32 s20, s0, s6
	s_load_dword s4, s[4:5], 0x2c
	s_addc_u32 s21, s1, s7
	s_lshl_b32 s0, s10, 3
	s_ashr_i32 s1, s0, 31
	s_lshl_b64 s[0:1], s[0:1], 2
	s_add_u32 s22, s2, s0
	s_addc_u32 s23, s3, s1
	s_waitcnt lgkmcnt(0)
	s_and_b32 s24, s4, 0xffff
	s_mov_b32 s0, s9
	s_mov_b32 s1, s9
	;; [unrolled: 1-line block ×8, first 2 shown]
	s_mov_b64 s[10:11], 0
	v_mov_b32_e32 v17, s21
	v_mov_b32_e32 v18, s23
	s_mov_b32 s13, 0
	v_mov_b32_e32 v19, 0
	s_branch .LBB0_3
.LBB0_2:                                ;   in Loop: Header=BB0_3 Depth=1
	v_add_u32_e32 v0, s24, v0
	v_cmp_le_i32_e32 vcc, s8, v0
	s_or_b64 s[10:11], vcc, s[10:11]
	s_andn2_b64 exec, exec, s[10:11]
	s_cbranch_execz .LBB0_11
.LBB0_3:                                ; =>This Loop Header: Depth=1
                                        ;     Child Loop BB0_7 Depth 2
	v_lshl_add_u32 v1, v0, 1, v0
	v_ashrrev_i32_e32 v2, 31, v1
	v_lshlrev_b64 v[1:2], 2, v[1:2]
	v_lshlrev_b32_e32 v15, 3, v0
	v_add_co_u32_e32 v1, vcc, s20, v1
	v_addc_co_u32_e32 v2, vcc, v17, v2, vcc
	global_load_dwordx3 v[9:11], v[1:2], off
	v_ashrrev_i32_e32 v16, 31, v15
	v_lshlrev_b64 v[1:2], 2, v[15:16]
	v_mov_b32_e32 v3, v0
	v_add_co_u32_e32 v4, vcc, s22, v1
	v_addc_co_u32_e32 v5, vcc, v18, v2, vcc
	v_mov_b32_e32 v1, v0
	v_mov_b32_e32 v2, v0
	global_store_dwordx4 v[4:5], v[0:3], off
	global_store_dwordx4 v[4:5], v[0:3], off offset:16
	v_mov_b32_e32 v8, s7
	v_mov_b32_e32 v7, s6
	;; [unrolled: 1-line block ×8, first 2 shown]
	s_mov_b32 s12, s13
	s_mov_b32 s25, s13
	s_branch .LBB0_7
.LBB0_4:                                ;   in Loop: Header=BB0_7 Depth=2
	s_or_b64 exec, exec, s[18:19]
.LBB0_5:                                ;   in Loop: Header=BB0_7 Depth=2
	s_or_b64 exec, exec, s[16:17]
.LBB0_6:                                ;   in Loop: Header=BB0_7 Depth=2
	s_or_b64 exec, exec, s[14:15]
	s_add_i32 s25, s25, 1
	s_add_i32 s12, s12, 3
	s_cmp_eq_u32 s8, s25
	s_cbranch_scc1 .LBB0_2
.LBB0_7:                                ;   Parent Loop BB0_3 Depth=1
                                        ; =>  This Inner Loop Header: Depth=2
	v_cmp_ne_u32_e32 vcc, s25, v0
	s_and_saveexec_b64 s[14:15], vcc
	s_cbranch_execz .LBB0_6
; %bb.8:                                ;   in Loop: Header=BB0_7 Depth=2
	s_lshl_b64 s[16:17], s[12:13], 2
	s_add_u32 s16, s20, s16
	s_addc_u32 s17, s21, s17
	global_load_dwordx3 v[12:14], v19, s[16:17]
	s_waitcnt vmcnt(0)
	v_sub_u32_e32 v16, v9, v12
	v_sub_u32_e32 v20, v10, v13
	;; [unrolled: 1-line block ×3, first 2 shown]
	v_mul_lo_u32 v16, v16, v16
	v_mul_lo_u32 v20, v20, v20
	;; [unrolled: 1-line block ×3, first 2 shown]
	v_add3_u32 v16, v20, v16, v21
	v_cmp_ge_i32_e32 vcc, s9, v16
	s_and_saveexec_b64 s[16:17], vcc
	s_cbranch_execz .LBB0_5
; %bb.9:                                ;   in Loop: Header=BB0_7 Depth=2
	v_cmp_lt_i32_e32 vcc, v11, v14
	v_cndmask_b32_e64 v14, 0, 1, vcc
	v_cmp_lt_i32_e32 vcc, v9, v12
	v_cndmask_b32_e64 v12, 0, 4, vcc
	;; [unrolled: 2-line block ×3, first 2 shown]
	v_or3_b32 v12, v13, v12, v14
	v_cmp_eq_u32_e32 vcc, 1, v12
	v_cndmask_b32_e32 v13, v1, v2, vcc
	v_cmp_eq_u32_e32 vcc, 2, v12
	v_cndmask_b32_e32 v13, v13, v3, vcc
	;; [unrolled: 2-line block ×7, first 2 shown]
	v_cmp_lt_i32_e32 vcc, v16, v13
	s_and_saveexec_b64 s[18:19], vcc
	s_cbranch_execz .LBB0_4
; %bb.10:                               ;   in Loop: Header=BB0_7 Depth=2
	v_cmp_eq_u32_e32 vcc, 7, v12
	v_cndmask_b32_e32 v8, v8, v16, vcc
	v_cmp_eq_u32_e32 vcc, 6, v12
	v_cndmask_b32_e32 v7, v7, v16, vcc
	;; [unrolled: 2-line block ×7, first 2 shown]
	v_cmp_eq_u32_e32 vcc, 0, v12
	v_or_b32_e32 v12, v12, v15
	v_ashrrev_i32_e32 v13, 31, v12
	v_lshlrev_b64 v[12:13], 2, v[12:13]
	v_cndmask_b32_e32 v1, v1, v16, vcc
	v_mov_b32_e32 v14, s23
	v_add_co_u32_e32 v12, vcc, s22, v12
	v_addc_co_u32_e32 v13, vcc, v14, v13, vcc
	v_mov_b32_e32 v14, s25
	global_store_dword v[12:13], v14, off
	s_branch .LBB0_4
.LBB0_11:
	s_endpgm
	.section	.rodata,"a",@progbits
	.p2align	6, 0x0
	.amdhsa_kernel _Z13k_cube_selectiiiPKiPi
		.amdhsa_group_segment_fixed_size 0
		.amdhsa_private_segment_fixed_size 0
		.amdhsa_kernarg_size 288
		.amdhsa_user_sgpr_count 6
		.amdhsa_user_sgpr_private_segment_buffer 1
		.amdhsa_user_sgpr_dispatch_ptr 0
		.amdhsa_user_sgpr_queue_ptr 0
		.amdhsa_user_sgpr_kernarg_segment_ptr 1
		.amdhsa_user_sgpr_dispatch_id 0
		.amdhsa_user_sgpr_flat_scratch_init 0
		.amdhsa_user_sgpr_private_segment_size 0
		.amdhsa_uses_dynamic_stack 0
		.amdhsa_system_sgpr_private_segment_wavefront_offset 0
		.amdhsa_system_sgpr_workgroup_id_x 1
		.amdhsa_system_sgpr_workgroup_id_y 0
		.amdhsa_system_sgpr_workgroup_id_z 0
		.amdhsa_system_sgpr_workgroup_info 0
		.amdhsa_system_vgpr_workitem_id 0
		.amdhsa_next_free_vgpr 22
		.amdhsa_next_free_sgpr 26
		.amdhsa_reserve_vcc 1
		.amdhsa_reserve_flat_scratch 0
		.amdhsa_float_round_mode_32 0
		.amdhsa_float_round_mode_16_64 0
		.amdhsa_float_denorm_mode_32 3
		.amdhsa_float_denorm_mode_16_64 3
		.amdhsa_dx10_clamp 1
		.amdhsa_ieee_mode 1
		.amdhsa_fp16_overflow 0
		.amdhsa_exception_fp_ieee_invalid_op 0
		.amdhsa_exception_fp_denorm_src 0
		.amdhsa_exception_fp_ieee_div_zero 0
		.amdhsa_exception_fp_ieee_overflow 0
		.amdhsa_exception_fp_ieee_underflow 0
		.amdhsa_exception_fp_ieee_inexact 0
		.amdhsa_exception_int_div_zero 0
	.end_amdhsa_kernel
	.text
.Lfunc_end0:
	.size	_Z13k_cube_selectiiiPKiPi, .Lfunc_end0-_Z13k_cube_selectiiiPKiPi
                                        ; -- End function
	.set _Z13k_cube_selectiiiPKiPi.num_vgpr, 22
	.set _Z13k_cube_selectiiiPKiPi.num_agpr, 0
	.set _Z13k_cube_selectiiiPKiPi.numbered_sgpr, 26
	.set _Z13k_cube_selectiiiPKiPi.num_named_barrier, 0
	.set _Z13k_cube_selectiiiPKiPi.private_seg_size, 0
	.set _Z13k_cube_selectiiiPKiPi.uses_vcc, 1
	.set _Z13k_cube_selectiiiPKiPi.uses_flat_scratch, 0
	.set _Z13k_cube_selectiiiPKiPi.has_dyn_sized_stack, 0
	.set _Z13k_cube_selectiiiPKiPi.has_recursion, 0
	.set _Z13k_cube_selectiiiPKiPi.has_indirect_call, 0
	.section	.AMDGPU.csdata,"",@progbits
; Kernel info:
; codeLenInByte = 652
; TotalNumSgprs: 30
; NumVgprs: 22
; ScratchSize: 0
; MemoryBound: 0
; FloatMode: 240
; IeeeMode: 1
; LDSByteSize: 0 bytes/workgroup (compile time only)
; SGPRBlocks: 3
; VGPRBlocks: 5
; NumSGPRsForWavesPerEU: 30
; NumVGPRsForWavesPerEU: 22
; Occupancy: 10
; WaveLimiterHint : 0
; COMPUTE_PGM_RSRC2:SCRATCH_EN: 0
; COMPUTE_PGM_RSRC2:USER_SGPR: 6
; COMPUTE_PGM_RSRC2:TRAP_HANDLER: 0
; COMPUTE_PGM_RSRC2:TGID_X_EN: 1
; COMPUTE_PGM_RSRC2:TGID_Y_EN: 0
; COMPUTE_PGM_RSRC2:TGID_Z_EN: 0
; COMPUTE_PGM_RSRC2:TIDIG_COMP_CNT: 0
	.text
	.protected	_Z17k_cube_select_twoiiiPKiPi ; -- Begin function _Z17k_cube_select_twoiiiPKiPi
	.globl	_Z17k_cube_select_twoiiiPKiPi
	.p2align	8
	.type	_Z17k_cube_select_twoiiiPKiPi,@function
_Z17k_cube_select_twoiiiPKiPi:          ; @_Z17k_cube_select_twoiiiPKiPi
; %bb.0:
	s_load_dwordx2 s[16:17], s[4:5], 0x4
	s_waitcnt lgkmcnt(0)
	v_cmp_gt_i32_e32 vcc, s16, v0
	s_and_saveexec_b64 s[0:1], vcc
	s_cbranch_execz .LBB1_15
; %bb.1:
	s_load_dwordx4 s[0:3], s[4:5], 0x10
	s_mul_i32 s8, s16, s6
	s_mul_i32 s6, s8, 3
	s_ashr_i32 s7, s6, 31
	s_lshl_b64 s[6:7], s[6:7], 2
	s_waitcnt lgkmcnt(0)
	s_add_u32 s33, s0, s6
	s_load_dword s4, s[4:5], 0x2c
	s_addc_u32 s34, s1, s7
	s_lshl_b32 s0, s8, 4
	s_ashr_i32 s1, s0, 31
	s_lshl_b64 s[0:1], s[0:1], 2
	s_add_u32 s35, s2, s0
	s_addc_u32 s36, s3, s1
	s_waitcnt lgkmcnt(0)
	s_and_b32 s37, s4, 0xffff
	s_mov_b32 s0, s17
	s_mov_b32 s1, s17
	;; [unrolled: 1-line block ×16, first 2 shown]
	s_mov_b64 s[18:19], 0
	v_mov_b32_e32 v26, s34
	v_mov_b32_e32 v27, s36
	s_mov_b32 s21, 0
	v_mov_b32_e32 v28, 0
	s_branch .LBB1_3
.LBB1_2:                                ;   in Loop: Header=BB1_3 Depth=1
	v_add_u32_e32 v0, s37, v0
	v_cmp_le_i32_e32 vcc, s16, v0
	s_or_b64 s[18:19], vcc, s[18:19]
	s_andn2_b64 exec, exec, s[18:19]
	s_cbranch_execz .LBB1_15
.LBB1_3:                                ; =>This Loop Header: Depth=1
                                        ;     Child Loop BB1_8 Depth 2
	v_lshl_add_u32 v1, v0, 1, v0
	v_ashrrev_i32_e32 v2, 31, v1
	v_lshlrev_b64 v[1:2], 2, v[1:2]
	v_lshlrev_b32_e32 v23, 4, v0
	v_add_co_u32_e32 v1, vcc, s33, v1
	v_addc_co_u32_e32 v2, vcc, v26, v2, vcc
	global_load_dwordx3 v[17:19], v[1:2], off
	v_ashrrev_i32_e32 v24, 31, v23
	v_lshlrev_b64 v[1:2], 2, v[23:24]
	v_mov_b32_e32 v3, v0
	v_add_co_u32_e32 v4, vcc, s35, v1
	v_addc_co_u32_e32 v5, vcc, v27, v2, vcc
	v_mov_b32_e32 v1, v0
	v_mov_b32_e32 v2, v0
	global_store_dwordx4 v[4:5], v[0:3], off
	global_store_dwordx4 v[4:5], v[0:3], off offset:16
	global_store_dwordx4 v[4:5], v[0:3], off offset:32
	;; [unrolled: 1-line block ×3, first 2 shown]
	v_mov_b32_e32 v16, s15
	s_mov_b32 s20, s21
	v_mov_b32_e32 v15, s14
	v_mov_b32_e32 v14, s13
	;; [unrolled: 1-line block ×15, first 2 shown]
	s_mov_b32 s38, s21
	s_branch .LBB1_8
.LBB1_4:                                ;   in Loop: Header=BB1_8 Depth=2
	s_or_b64 exec, exec, s[28:29]
	v_or_b32_e32 v21, v30, v24
	v_ashrrev_i32_e32 v22, 31, v21
	v_lshlrev_b64 v[21:22], 2, v[21:22]
	v_mov_b32_e32 v24, s36
	v_add_co_u32_e32 v21, vcc, s35, v21
	v_addc_co_u32_e32 v22, vcc, v24, v22, vcc
	v_cmp_eq_u32_e32 vcc, 15, v20
	v_cndmask_b32_e32 v16, v16, v29, vcc
	v_cmp_eq_u32_e32 vcc, 14, v20
	v_cndmask_b32_e32 v15, v15, v29, vcc
	v_cmp_eq_u32_e32 vcc, 13, v20
	v_cndmask_b32_e32 v14, v14, v29, vcc
	v_cmp_eq_u32_e32 vcc, 12, v20
	v_cndmask_b32_e32 v13, v13, v29, vcc
	v_cmp_eq_u32_e32 vcc, 11, v20
	v_cndmask_b32_e32 v12, v12, v29, vcc
	v_cmp_eq_u32_e32 vcc, 10, v20
	v_cndmask_b32_e32 v11, v11, v29, vcc
	v_cmp_eq_u32_e32 vcc, 9, v20
	v_cndmask_b32_e32 v10, v10, v29, vcc
	v_cmp_eq_u32_e32 vcc, 8, v20
	v_cndmask_b32_e32 v9, v9, v29, vcc
	v_cmp_eq_u32_e32 vcc, 7, v20
	v_cndmask_b32_e32 v8, v8, v29, vcc
	v_cmp_eq_u32_e32 vcc, 6, v20
	v_cndmask_b32_e32 v7, v7, v29, vcc
	v_cmp_eq_u32_e32 vcc, 5, v20
	v_cndmask_b32_e32 v6, v6, v29, vcc
	v_cmp_eq_u32_e32 vcc, 4, v20
	v_cndmask_b32_e32 v5, v5, v29, vcc
	v_cmp_eq_u32_e32 vcc, 3, v20
	v_cndmask_b32_e32 v4, v4, v29, vcc
	v_cmp_eq_u32_e32 vcc, 2, v20
	v_cndmask_b32_e32 v3, v3, v29, vcc
	v_cmp_eq_u32_e32 vcc, 1, v20
	v_cndmask_b32_e32 v2, v2, v29, vcc
	v_cmp_eq_u32_e32 vcc, 0, v20
	v_mov_b32_e32 v24, s38
	v_cndmask_b32_e32 v1, v1, v29, vcc
	global_store_dword v[21:22], v24, off
.LBB1_5:                                ;   in Loop: Header=BB1_8 Depth=2
	s_or_b64 exec, exec, s[26:27]
.LBB1_6:                                ;   in Loop: Header=BB1_8 Depth=2
	s_or_b64 exec, exec, s[24:25]
.LBB1_7:                                ;   in Loop: Header=BB1_8 Depth=2
	s_or_b64 exec, exec, s[22:23]
	s_add_i32 s38, s38, 1
	s_add_i32 s20, s20, 3
	s_cmp_eq_u32 s16, s38
	s_cbranch_scc1 .LBB1_2
.LBB1_8:                                ;   Parent Loop BB1_3 Depth=1
                                        ; =>  This Inner Loop Header: Depth=2
	v_cmp_ne_u32_e32 vcc, s38, v0
	s_and_saveexec_b64 s[22:23], vcc
	s_cbranch_execz .LBB1_7
; %bb.9:                                ;   in Loop: Header=BB1_8 Depth=2
	s_lshl_b64 s[24:25], s[20:21], 2
	s_add_u32 s24, s33, s24
	s_addc_u32 s25, s34, s25
	global_load_dwordx3 v[20:22], v28, s[24:25]
	s_waitcnt vmcnt(0)
	v_sub_u32_e32 v24, v17, v20
	v_sub_u32_e32 v25, v18, v21
	;; [unrolled: 1-line block ×3, first 2 shown]
	v_mul_lo_u32 v24, v24, v24
	v_mul_lo_u32 v25, v25, v25
	;; [unrolled: 1-line block ×3, first 2 shown]
	v_add3_u32 v29, v25, v24, v29
	v_cmp_ge_i32_e32 vcc, s17, v29
	s_and_saveexec_b64 s[24:25], vcc
	s_cbranch_execz .LBB1_6
; %bb.10:                               ;   in Loop: Header=BB1_8 Depth=2
	v_cmp_lt_i32_e32 vcc, v17, v20
	v_cndmask_b32_e64 v20, 0, 8, vcc
	v_cmp_lt_i32_e32 vcc, v18, v21
	v_cndmask_b32_e64 v21, 0, 4, vcc
	;; [unrolled: 2-line block ×3, first 2 shown]
	v_or3_b32 v22, v21, v20, v22
	v_cmp_eq_u32_e32 vcc, 1, v22
	v_cndmask_b32_e32 v20, v1, v2, vcc
	v_cmp_eq_u32_e32 vcc, 2, v22
	v_cndmask_b32_e32 v20, v20, v3, vcc
	;; [unrolled: 2-line block ×15, first 2 shown]
	v_cmp_lt_i32_e64 s[30:31], v29, v31
	v_mov_b32_e32 v30, 0
	v_cmp_ge_i32_e32 vcc, v29, v31
	s_mov_b64 s[28:29], s[30:31]
	v_mov_b32_e32 v20, v22
	v_mov_b32_e32 v21, v23
	s_and_saveexec_b64 s[26:27], vcc
	s_cbranch_execz .LBB1_12
; %bb.11:                               ;   in Loop: Header=BB1_8 Depth=2
	v_or_b32_e32 v20, 1, v22
	v_cmp_eq_u32_e32 vcc, 1, v20
	v_cndmask_b32_e32 v21, v1, v2, vcc
	v_cmp_eq_u32_e32 vcc, 2, v20
	v_cndmask_b32_e32 v21, v21, v3, vcc
	;; [unrolled: 2-line block ×15, first 2 shown]
	v_cmp_lt_i32_e32 vcc, v29, v21
	s_andn2_b64 s[28:29], s[30:31], exec
	s_and_b64 s[40:41], vcc, exec
	v_mov_b32_e32 v30, 1
	s_or_b64 s[28:29], s[28:29], s[40:41]
.LBB1_12:                               ;   in Loop: Header=BB1_8 Depth=2
	s_or_b64 exec, exec, s[26:27]
	s_and_saveexec_b64 s[26:27], s[28:29]
	s_cbranch_execz .LBB1_5
; %bb.13:                               ;   in Loop: Header=BB1_8 Depth=2
	v_or_b32_e32 v24, v22, v23
	s_and_saveexec_b64 s[28:29], s[30:31]
	s_cbranch_execz .LBB1_4
; %bb.14:                               ;   in Loop: Header=BB1_8 Depth=2
	v_ashrrev_i32_e32 v25, 31, v24
	v_lshlrev_b64 v[32:33], 2, v[24:25]
	v_mov_b32_e32 v21, s36
	v_add_co_u32_e32 v32, vcc, s35, v32
	v_addc_co_u32_e32 v33, vcc, v21, v33, vcc
	global_load_dword v21, v[32:33], off
	v_or_b32_e32 v22, 1, v22
	v_cmp_eq_u32_e32 vcc, 15, v22
	v_cndmask_b32_e32 v16, v16, v31, vcc
	v_cmp_eq_u32_e32 vcc, 14, v22
	v_cndmask_b32_e32 v15, v15, v31, vcc
	;; [unrolled: 2-line block ×16, first 2 shown]
	s_waitcnt vmcnt(0)
	global_store_dword v[32:33], v21, off offset:4
	s_branch .LBB1_4
.LBB1_15:
	s_endpgm
	.section	.rodata,"a",@progbits
	.p2align	6, 0x0
	.amdhsa_kernel _Z17k_cube_select_twoiiiPKiPi
		.amdhsa_group_segment_fixed_size 0
		.amdhsa_private_segment_fixed_size 0
		.amdhsa_kernarg_size 288
		.amdhsa_user_sgpr_count 6
		.amdhsa_user_sgpr_private_segment_buffer 1
		.amdhsa_user_sgpr_dispatch_ptr 0
		.amdhsa_user_sgpr_queue_ptr 0
		.amdhsa_user_sgpr_kernarg_segment_ptr 1
		.amdhsa_user_sgpr_dispatch_id 0
		.amdhsa_user_sgpr_flat_scratch_init 0
		.amdhsa_user_sgpr_private_segment_size 0
		.amdhsa_uses_dynamic_stack 0
		.amdhsa_system_sgpr_private_segment_wavefront_offset 0
		.amdhsa_system_sgpr_workgroup_id_x 1
		.amdhsa_system_sgpr_workgroup_id_y 0
		.amdhsa_system_sgpr_workgroup_id_z 0
		.amdhsa_system_sgpr_workgroup_info 0
		.amdhsa_system_vgpr_workitem_id 0
		.amdhsa_next_free_vgpr 34
		.amdhsa_next_free_sgpr 42
		.amdhsa_reserve_vcc 1
		.amdhsa_reserve_flat_scratch 0
		.amdhsa_float_round_mode_32 0
		.amdhsa_float_round_mode_16_64 0
		.amdhsa_float_denorm_mode_32 3
		.amdhsa_float_denorm_mode_16_64 3
		.amdhsa_dx10_clamp 1
		.amdhsa_ieee_mode 1
		.amdhsa_fp16_overflow 0
		.amdhsa_exception_fp_ieee_invalid_op 0
		.amdhsa_exception_fp_denorm_src 0
		.amdhsa_exception_fp_ieee_div_zero 0
		.amdhsa_exception_fp_ieee_overflow 0
		.amdhsa_exception_fp_ieee_underflow 0
		.amdhsa_exception_fp_ieee_inexact 0
		.amdhsa_exception_int_div_zero 0
	.end_amdhsa_kernel
	.text
.Lfunc_end1:
	.size	_Z17k_cube_select_twoiiiPKiPi, .Lfunc_end1-_Z17k_cube_select_twoiiiPKiPi
                                        ; -- End function
	.set _Z17k_cube_select_twoiiiPKiPi.num_vgpr, 34
	.set _Z17k_cube_select_twoiiiPKiPi.num_agpr, 0
	.set _Z17k_cube_select_twoiiiPKiPi.numbered_sgpr, 42
	.set _Z17k_cube_select_twoiiiPKiPi.num_named_barrier, 0
	.set _Z17k_cube_select_twoiiiPKiPi.private_seg_size, 0
	.set _Z17k_cube_select_twoiiiPKiPi.uses_vcc, 1
	.set _Z17k_cube_select_twoiiiPKiPi.uses_flat_scratch, 0
	.set _Z17k_cube_select_twoiiiPKiPi.has_dyn_sized_stack, 0
	.set _Z17k_cube_select_twoiiiPKiPi.has_recursion, 0
	.set _Z17k_cube_select_twoiiiPKiPi.has_indirect_call, 0
	.section	.AMDGPU.csdata,"",@progbits
; Kernel info:
; codeLenInByte = 1232
; TotalNumSgprs: 46
; NumVgprs: 34
; ScratchSize: 0
; MemoryBound: 0
; FloatMode: 240
; IeeeMode: 1
; LDSByteSize: 0 bytes/workgroup (compile time only)
; SGPRBlocks: 5
; VGPRBlocks: 8
; NumSGPRsForWavesPerEU: 46
; NumVGPRsForWavesPerEU: 34
; Occupancy: 7
; WaveLimiterHint : 0
; COMPUTE_PGM_RSRC2:SCRATCH_EN: 0
; COMPUTE_PGM_RSRC2:USER_SGPR: 6
; COMPUTE_PGM_RSRC2:TRAP_HANDLER: 0
; COMPUTE_PGM_RSRC2:TGID_X_EN: 1
; COMPUTE_PGM_RSRC2:TGID_Y_EN: 0
; COMPUTE_PGM_RSRC2:TGID_Z_EN: 0
; COMPUTE_PGM_RSRC2:TIDIG_COMP_CNT: 0
	.text
	.protected	_Z18k_cube_select_fouriiiPKiPi ; -- Begin function _Z18k_cube_select_fouriiiPKiPi
	.globl	_Z18k_cube_select_fouriiiPKiPi
	.p2align	8
	.type	_Z18k_cube_select_fouriiiPKiPi,@function
_Z18k_cube_select_fouriiiPKiPi:         ; @_Z18k_cube_select_fouriiiPKiPi
; %bb.0:
	s_load_dwordx2 s[8:9], s[4:5], 0x4
	s_add_u32 s0, s0, s7
	s_addc_u32 s1, s1, 0
	s_waitcnt lgkmcnt(0)
	v_cmp_gt_i32_e32 vcc, s8, v0
	s_and_saveexec_b64 s[10:11], vcc
	s_cbranch_execz .LBB2_18
; %bb.1:
	s_load_dwordx4 s[12:15], s[4:5], 0x10
	s_load_dword s11, s[4:5], 0x2c
	s_mul_i32 s10, s8, s6
	s_mul_i32 s6, s10, 3
	s_ashr_i32 s7, s6, 31
	s_lshl_b64 s[6:7], s[6:7], 2
	s_waitcnt lgkmcnt(0)
	s_add_u32 s26, s12, s6
	s_addc_u32 s27, s13, s7
	s_lshl_b32 s4, s10, 5
	s_ashr_i32 s5, s4, 31
	s_lshl_b64 s[4:5], s[4:5], 2
	s_add_u32 s28, s14, s4
	s_addc_u32 s29, s15, s5
	s_and_b32 s30, s11, 0xffff
	s_or_b32 s31, 0, 8
	v_lshlrev_b32_e32 v9, 5, v0
	s_lshl_b32 s33, s30, 5
	s_mov_b64 s[10:11], 0
	v_mov_b32_e32 v10, s27
	v_mov_b32_e32 v11, s9
	;; [unrolled: 1-line block ×3, first 2 shown]
	s_mov_b32 s13, 0
	v_mov_b32_e32 v13, 0
	v_mov_b32_e32 v14, 0
	s_branch .LBB2_3
.LBB2_2:                                ;   in Loop: Header=BB2_3 Depth=1
	v_add_u32_e32 v0, s30, v0
	v_cmp_le_i32_e32 vcc, s8, v0
	s_or_b64 s[10:11], vcc, s[10:11]
	v_add_u32_e32 v9, s33, v9
	s_andn2_b64 exec, exec, s[10:11]
	s_cbranch_execz .LBB2_18
.LBB2_3:                                ; =>This Loop Header: Depth=1
                                        ;     Child Loop BB2_6 Depth 2
                                        ;       Child Loop BB2_17 Depth 3
	v_lshl_add_u32 v1, v0, 1, v0
	v_ashrrev_i32_e32 v2, 31, v1
	v_lshlrev_b64 v[1:2], 2, v[1:2]
	v_lshlrev_b32_e32 v7, 5, v0
	v_add_co_u32_e32 v1, vcc, s26, v1
	v_addc_co_u32_e32 v2, vcc, v10, v2, vcc
	global_load_dwordx3 v[4:6], v[1:2], off
	v_ashrrev_i32_e32 v8, 31, v7
	v_lshlrev_b64 v[1:2], 2, v[7:8]
	v_mov_b32_e32 v3, v0
	v_add_co_u32_e32 v15, vcc, s28, v1
	v_addc_co_u32_e32 v16, vcc, v12, v2, vcc
	v_mov_b32_e32 v1, v0
	v_mov_b32_e32 v2, v0
	s_mov_b32 s34, s13
	buffer_store_dword v11, off, s[0:3], 0
	buffer_store_dword v11, off, s[0:3], 0 offset:4
	buffer_store_dword v11, off, s[0:3], 0 offset:8
	;; [unrolled: 1-line block ×3, first 2 shown]
	global_store_dwordx4 v[15:16], v[0:3], off
	buffer_store_dword v11, off, s[0:3], 0 offset:16
	buffer_store_dword v11, off, s[0:3], 0 offset:20
	buffer_store_dword v11, off, s[0:3], 0 offset:24
	buffer_store_dword v11, off, s[0:3], 0 offset:28
	global_store_dwordx4 v[15:16], v[0:3], off offset:16
	buffer_store_dword v11, off, s[0:3], 0 offset:32
	buffer_store_dword v11, off, s[0:3], 0 offset:36
	buffer_store_dword v11, off, s[0:3], 0 offset:40
	buffer_store_dword v11, off, s[0:3], 0 offset:44
	global_store_dwordx4 v[15:16], v[0:3], off offset:32
	;; [unrolled: 5-line block ×7, first 2 shown]
	s_branch .LBB2_6
.LBB2_4:                                ;   in Loop: Header=BB2_6 Depth=2
	s_or_b64 exec, exec, s[4:5]
	v_or3_b32 v1, v1, v7, v2
	v_ashrrev_i32_e32 v2, 31, v1
	v_lshlrev_b64 v[1:2], 2, v[1:2]
	v_mov_b32_e32 v15, s29
	v_add_co_u32_e32 v1, vcc, s28, v1
	v_addc_co_u32_e32 v2, vcc, v15, v2, vcc
	v_mov_b32_e32 v15, s34
	global_store_dword v[1:2], v15, off
	buffer_store_dword v8, v3, s[0:3], 0 offen
.LBB2_5:                                ;   in Loop: Header=BB2_6 Depth=2
	s_or_b64 exec, exec, s[14:15]
	s_add_i32 s34, s34, 1
	s_cmp_eq_u32 s34, s8
	s_cbranch_scc1 .LBB2_2
.LBB2_6:                                ;   Parent Loop BB2_3 Depth=1
                                        ; =>  This Loop Header: Depth=2
                                        ;       Child Loop BB2_17 Depth 3
	v_cmp_ne_u32_e32 vcc, s34, v0
	s_and_saveexec_b64 s[14:15], vcc
	s_cbranch_execz .LBB2_5
; %bb.7:                                ;   in Loop: Header=BB2_6 Depth=2
	s_mul_i32 s12, s34, 3
	s_lshl_b64 s[4:5], s[12:13], 2
	s_add_u32 s4, s26, s4
	s_addc_u32 s5, s27, s5
	global_load_dwordx3 v[1:3], v13, s[4:5]
	s_waitcnt vmcnt(0)
	v_sub_u32_e32 v8, v4, v1
	v_sub_u32_e32 v15, v5, v2
	;; [unrolled: 1-line block ×3, first 2 shown]
	v_mul_lo_u32 v8, v8, v8
	v_mul_lo_u32 v15, v15, v15
	;; [unrolled: 1-line block ×3, first 2 shown]
	v_add3_u32 v8, v15, v8, v16
	v_cmp_ge_i32_e32 vcc, s9, v8
	s_and_b64 exec, exec, vcc
	s_cbranch_execz .LBB2_5
; %bb.8:                                ;   in Loop: Header=BB2_6 Depth=2
	v_cmp_lt_i32_e32 vcc, v4, v1
	v_cndmask_b32_e64 v15, 0, 16, vcc
	v_cmp_lt_i32_e32 vcc, v5, v2
	v_cndmask_b32_e64 v16, 0, 8, vcc
	;; [unrolled: 2-line block ×3, first 2 shown]
	v_or3_b32 v1, v16, v15, v17
	v_lshl_add_u32 v3, v1, 2, v14
	buffer_load_dword v18, v3, s[0:3], 0 offen
	v_mov_b32_e32 v2, 0
	s_mov_b64 s[6:7], -1
	s_waitcnt vmcnt(0)
	v_cmp_lt_i32_e32 vcc, v8, v18
	v_cmp_ge_i32_e64 s[4:5], v8, v18
	s_and_saveexec_b64 s[16:17], s[4:5]
	s_cbranch_execz .LBB2_14
; %bb.9:                                ;   in Loop: Header=BB2_6 Depth=2
	buffer_load_dword v2, v3, s[0:3], 0 offen offset:4
	v_add_u32_e32 v18, 4, v3
	s_mov_b64 s[22:23], -1
	s_waitcnt vmcnt(0)
	v_cmp_lt_i32_e64 s[4:5], v8, v2
	v_cmp_ge_i32_e64 s[6:7], v8, v2
	v_mov_b32_e32 v2, 1
	s_and_saveexec_b64 s[18:19], s[6:7]
	s_cbranch_execz .LBB2_13
; %bb.10:                               ;   in Loop: Header=BB2_6 Depth=2
	buffer_load_dword v2, v3, s[0:3], 0 offen offset:8
	v_add_u32_e32 v18, 8, v3
	s_waitcnt vmcnt(0)
	v_cmp_lt_i32_e64 s[20:21], v8, v2
	v_cmp_ge_i32_e64 s[6:7], v8, v2
	v_mov_b32_e32 v2, 2
	s_and_saveexec_b64 s[24:25], s[6:7]
	s_xor_b64 s[24:25], exec, s[24:25]
	s_cbranch_execz .LBB2_12
; %bb.11:                               ;   in Loop: Header=BB2_6 Depth=2
	buffer_load_dword v19, v3, s[0:3], 0 offen offset:12
	s_andn2_b64 s[20:21], s[20:21], exec
	v_add_u32_e32 v18, 12, v3
	v_mov_b32_e32 v2, 3
	s_xor_b64 s[22:23], exec, -1
	s_waitcnt vmcnt(0)
	v_cmp_lt_i32_e64 s[6:7], v8, v19
	s_and_b64 s[6:7], s[6:7], exec
	s_or_b64 s[20:21], s[20:21], s[6:7]
.LBB2_12:                               ;   in Loop: Header=BB2_6 Depth=2
	s_or_b64 exec, exec, s[24:25]
	s_andn2_b64 s[4:5], s[4:5], exec
	s_and_b64 s[6:7], s[20:21], exec
	s_orn2_b64 s[22:23], s[22:23], exec
	s_or_b64 s[4:5], s[4:5], s[6:7]
.LBB2_13:                               ;   in Loop: Header=BB2_6 Depth=2
	s_or_b64 exec, exec, s[18:19]
	s_andn2_b64 s[18:19], vcc, exec
	s_and_b64 s[4:5], s[4:5], exec
	s_orn2_b64 s[6:7], s[22:23], exec
	s_or_b64 vcc, s[18:19], s[4:5]
	v_mov_b32_e32 v3, v18
.LBB2_14:                               ;   in Loop: Header=BB2_6 Depth=2
	s_or_b64 exec, exec, s[16:17]
	s_and_saveexec_b64 s[4:5], vcc
	s_xor_b64 s[4:5], exec, s[4:5]
	s_cbranch_execz .LBB2_5
; %bb.15:                               ;   in Loop: Header=BB2_6 Depth=2
	s_and_saveexec_b64 s[4:5], s[6:7]
	s_cbranch_execz .LBB2_4
; %bb.16:                               ;   in Loop: Header=BB2_6 Depth=2
	v_add_u32_e32 v15, v9, v15
	v_add3_u32 v15, v15, v17, v16
	v_lshl_add_u32 v16, v1, 2, s31
	s_mov_b32 s12, 3
	s_mov_b64 s[6:7], 0
.LBB2_17:                               ;   Parent Loop BB2_3 Depth=1
                                        ;     Parent Loop BB2_6 Depth=2
                                        ; =>    This Inner Loop Header: Depth=3
	v_add_u32_e32 v17, s12, v15
	v_ashrrev_i32_e32 v18, 31, v17
	v_lshlrev_b64 v[17:18], 2, v[17:18]
	v_mov_b32_e32 v19, s29
	v_add_co_u32_e32 v17, vcc, s28, v17
	buffer_load_dword v20, v16, s[0:3], 0 offen
	v_addc_co_u32_e32 v18, vcc, v19, v18, vcc
	global_load_dword v19, v[17:18], off offset:-4
	s_add_i32 s12, s12, -1
	v_cmp_le_u32_e32 vcc, s12, v2
	s_or_b64 s[6:7], vcc, s[6:7]
	s_waitcnt vmcnt(1)
	buffer_store_dword v20, v16, s[0:3], 0 offen offset:4
	v_add_u32_e32 v16, -4, v16
	s_waitcnt vmcnt(1)
	global_store_dword v[17:18], v19, off
	s_andn2_b64 exec, exec, s[6:7]
	s_cbranch_execnz .LBB2_17
	s_branch .LBB2_4
.LBB2_18:
	s_endpgm
	.section	.rodata,"a",@progbits
	.p2align	6, 0x0
	.amdhsa_kernel _Z18k_cube_select_fouriiiPKiPi
		.amdhsa_group_segment_fixed_size 0
		.amdhsa_private_segment_fixed_size 144
		.amdhsa_kernarg_size 288
		.amdhsa_user_sgpr_count 6
		.amdhsa_user_sgpr_private_segment_buffer 1
		.amdhsa_user_sgpr_dispatch_ptr 0
		.amdhsa_user_sgpr_queue_ptr 0
		.amdhsa_user_sgpr_kernarg_segment_ptr 1
		.amdhsa_user_sgpr_dispatch_id 0
		.amdhsa_user_sgpr_flat_scratch_init 0
		.amdhsa_user_sgpr_private_segment_size 0
		.amdhsa_uses_dynamic_stack 0
		.amdhsa_system_sgpr_private_segment_wavefront_offset 1
		.amdhsa_system_sgpr_workgroup_id_x 1
		.amdhsa_system_sgpr_workgroup_id_y 0
		.amdhsa_system_sgpr_workgroup_id_z 0
		.amdhsa_system_sgpr_workgroup_info 0
		.amdhsa_system_vgpr_workitem_id 0
		.amdhsa_next_free_vgpr 21
		.amdhsa_next_free_sgpr 35
		.amdhsa_reserve_vcc 1
		.amdhsa_reserve_flat_scratch 0
		.amdhsa_float_round_mode_32 0
		.amdhsa_float_round_mode_16_64 0
		.amdhsa_float_denorm_mode_32 3
		.amdhsa_float_denorm_mode_16_64 3
		.amdhsa_dx10_clamp 1
		.amdhsa_ieee_mode 1
		.amdhsa_fp16_overflow 0
		.amdhsa_exception_fp_ieee_invalid_op 0
		.amdhsa_exception_fp_denorm_src 0
		.amdhsa_exception_fp_ieee_div_zero 0
		.amdhsa_exception_fp_ieee_overflow 0
		.amdhsa_exception_fp_ieee_underflow 0
		.amdhsa_exception_fp_ieee_inexact 0
		.amdhsa_exception_int_div_zero 0
	.end_amdhsa_kernel
	.text
.Lfunc_end2:
	.size	_Z18k_cube_select_fouriiiPKiPi, .Lfunc_end2-_Z18k_cube_select_fouriiiPKiPi
                                        ; -- End function
	.set _Z18k_cube_select_fouriiiPKiPi.num_vgpr, 21
	.set _Z18k_cube_select_fouriiiPKiPi.num_agpr, 0
	.set _Z18k_cube_select_fouriiiPKiPi.numbered_sgpr, 35
	.set _Z18k_cube_select_fouriiiPKiPi.num_named_barrier, 0
	.set _Z18k_cube_select_fouriiiPKiPi.private_seg_size, 144
	.set _Z18k_cube_select_fouriiiPKiPi.uses_vcc, 1
	.set _Z18k_cube_select_fouriiiPKiPi.uses_flat_scratch, 0
	.set _Z18k_cube_select_fouriiiPKiPi.has_dyn_sized_stack, 0
	.set _Z18k_cube_select_fouriiiPKiPi.has_recursion, 0
	.set _Z18k_cube_select_fouriiiPKiPi.has_indirect_call, 0
	.section	.AMDGPU.csdata,"",@progbits
; Kernel info:
; codeLenInByte = 1168
; TotalNumSgprs: 39
; NumVgprs: 21
; ScratchSize: 144
; MemoryBound: 0
; FloatMode: 240
; IeeeMode: 1
; LDSByteSize: 0 bytes/workgroup (compile time only)
; SGPRBlocks: 4
; VGPRBlocks: 5
; NumSGPRsForWavesPerEU: 39
; NumVGPRsForWavesPerEU: 21
; Occupancy: 10
; WaveLimiterHint : 0
; COMPUTE_PGM_RSRC2:SCRATCH_EN: 1
; COMPUTE_PGM_RSRC2:USER_SGPR: 6
; COMPUTE_PGM_RSRC2:TRAP_HANDLER: 0
; COMPUTE_PGM_RSRC2:TGID_X_EN: 1
; COMPUTE_PGM_RSRC2:TGID_Y_EN: 0
; COMPUTE_PGM_RSRC2:TGID_Z_EN: 0
; COMPUTE_PGM_RSRC2:TIDIG_COMP_CNT: 0
	.section	.AMDGPU.gpr_maximums,"",@progbits
	.set amdgpu.max_num_vgpr, 0
	.set amdgpu.max_num_agpr, 0
	.set amdgpu.max_num_sgpr, 0
	.section	.AMDGPU.csdata,"",@progbits
	.type	__hip_cuid_4ec48fee74f9020b,@object ; @__hip_cuid_4ec48fee74f9020b
	.section	.bss,"aw",@nobits
	.globl	__hip_cuid_4ec48fee74f9020b
__hip_cuid_4ec48fee74f9020b:
	.byte	0                               ; 0x0
	.size	__hip_cuid_4ec48fee74f9020b, 1

	.ident	"AMD clang version 22.0.0git (https://github.com/RadeonOpenCompute/llvm-project roc-7.2.4 26084 f58b06dce1f9c15707c5f808fd002e18c2accf7e)"
	.section	".note.GNU-stack","",@progbits
	.addrsig
	.addrsig_sym __hip_cuid_4ec48fee74f9020b
	.amdgpu_metadata
---
amdhsa.kernels:
  - .args:
      - .offset:         0
        .size:           4
        .value_kind:     by_value
      - .offset:         4
        .size:           4
        .value_kind:     by_value
      - .offset:         8
        .size:           4
        .value_kind:     by_value
      - .address_space:  global
        .offset:         16
        .size:           8
        .value_kind:     global_buffer
      - .address_space:  global
        .offset:         24
        .size:           8
        .value_kind:     global_buffer
      - .offset:         32
        .size:           4
        .value_kind:     hidden_block_count_x
      - .offset:         36
        .size:           4
        .value_kind:     hidden_block_count_y
      - .offset:         40
        .size:           4
        .value_kind:     hidden_block_count_z
      - .offset:         44
        .size:           2
        .value_kind:     hidden_group_size_x
      - .offset:         46
        .size:           2
        .value_kind:     hidden_group_size_y
      - .offset:         48
        .size:           2
        .value_kind:     hidden_group_size_z
      - .offset:         50
        .size:           2
        .value_kind:     hidden_remainder_x
      - .offset:         52
        .size:           2
        .value_kind:     hidden_remainder_y
      - .offset:         54
        .size:           2
        .value_kind:     hidden_remainder_z
      - .offset:         72
        .size:           8
        .value_kind:     hidden_global_offset_x
      - .offset:         80
        .size:           8
        .value_kind:     hidden_global_offset_y
      - .offset:         88
        .size:           8
        .value_kind:     hidden_global_offset_z
      - .offset:         96
        .size:           2
        .value_kind:     hidden_grid_dims
    .group_segment_fixed_size: 0
    .kernarg_segment_align: 8
    .kernarg_segment_size: 288
    .language:       OpenCL C
    .language_version:
      - 2
      - 0
    .max_flat_workgroup_size: 1024
    .name:           _Z13k_cube_selectiiiPKiPi
    .private_segment_fixed_size: 0
    .sgpr_count:     30
    .sgpr_spill_count: 0
    .symbol:         _Z13k_cube_selectiiiPKiPi.kd
    .uniform_work_group_size: 1
    .uses_dynamic_stack: false
    .vgpr_count:     22
    .vgpr_spill_count: 0
    .wavefront_size: 64
  - .args:
      - .offset:         0
        .size:           4
        .value_kind:     by_value
      - .offset:         4
        .size:           4
        .value_kind:     by_value
      - .offset:         8
        .size:           4
        .value_kind:     by_value
      - .address_space:  global
        .offset:         16
        .size:           8
        .value_kind:     global_buffer
      - .address_space:  global
        .offset:         24
        .size:           8
        .value_kind:     global_buffer
      - .offset:         32
        .size:           4
        .value_kind:     hidden_block_count_x
      - .offset:         36
        .size:           4
        .value_kind:     hidden_block_count_y
      - .offset:         40
        .size:           4
        .value_kind:     hidden_block_count_z
      - .offset:         44
        .size:           2
        .value_kind:     hidden_group_size_x
      - .offset:         46
        .size:           2
        .value_kind:     hidden_group_size_y
      - .offset:         48
        .size:           2
        .value_kind:     hidden_group_size_z
      - .offset:         50
        .size:           2
        .value_kind:     hidden_remainder_x
      - .offset:         52
        .size:           2
        .value_kind:     hidden_remainder_y
      - .offset:         54
        .size:           2
        .value_kind:     hidden_remainder_z
      - .offset:         72
        .size:           8
        .value_kind:     hidden_global_offset_x
      - .offset:         80
        .size:           8
        .value_kind:     hidden_global_offset_y
      - .offset:         88
        .size:           8
        .value_kind:     hidden_global_offset_z
      - .offset:         96
        .size:           2
        .value_kind:     hidden_grid_dims
    .group_segment_fixed_size: 0
    .kernarg_segment_align: 8
    .kernarg_segment_size: 288
    .language:       OpenCL C
    .language_version:
      - 2
      - 0
    .max_flat_workgroup_size: 1024
    .name:           _Z17k_cube_select_twoiiiPKiPi
    .private_segment_fixed_size: 0
    .sgpr_count:     46
    .sgpr_spill_count: 0
    .symbol:         _Z17k_cube_select_twoiiiPKiPi.kd
    .uniform_work_group_size: 1
    .uses_dynamic_stack: false
    .vgpr_count:     34
    .vgpr_spill_count: 0
    .wavefront_size: 64
  - .args:
      - .offset:         0
        .size:           4
        .value_kind:     by_value
      - .offset:         4
        .size:           4
        .value_kind:     by_value
      - .offset:         8
        .size:           4
        .value_kind:     by_value
      - .address_space:  global
        .offset:         16
        .size:           8
        .value_kind:     global_buffer
      - .address_space:  global
        .offset:         24
        .size:           8
        .value_kind:     global_buffer
      - .offset:         32
        .size:           4
        .value_kind:     hidden_block_count_x
      - .offset:         36
        .size:           4
        .value_kind:     hidden_block_count_y
      - .offset:         40
        .size:           4
        .value_kind:     hidden_block_count_z
      - .offset:         44
        .size:           2
        .value_kind:     hidden_group_size_x
      - .offset:         46
        .size:           2
        .value_kind:     hidden_group_size_y
      - .offset:         48
        .size:           2
        .value_kind:     hidden_group_size_z
      - .offset:         50
        .size:           2
        .value_kind:     hidden_remainder_x
      - .offset:         52
        .size:           2
        .value_kind:     hidden_remainder_y
      - .offset:         54
        .size:           2
        .value_kind:     hidden_remainder_z
      - .offset:         72
        .size:           8
        .value_kind:     hidden_global_offset_x
      - .offset:         80
        .size:           8
        .value_kind:     hidden_global_offset_y
      - .offset:         88
        .size:           8
        .value_kind:     hidden_global_offset_z
      - .offset:         96
        .size:           2
        .value_kind:     hidden_grid_dims
    .group_segment_fixed_size: 0
    .kernarg_segment_align: 8
    .kernarg_segment_size: 288
    .language:       OpenCL C
    .language_version:
      - 2
      - 0
    .max_flat_workgroup_size: 1024
    .name:           _Z18k_cube_select_fouriiiPKiPi
    .private_segment_fixed_size: 144
    .sgpr_count:     39
    .sgpr_spill_count: 0
    .symbol:         _Z18k_cube_select_fouriiiPKiPi.kd
    .uniform_work_group_size: 1
    .uses_dynamic_stack: false
    .vgpr_count:     21
    .vgpr_spill_count: 0
    .wavefront_size: 64
amdhsa.target:   amdgcn-amd-amdhsa--gfx906
amdhsa.version:
  - 1
  - 2
...

	.end_amdgpu_metadata
